;; amdgpu-corpus repo=ROCm/rocFFT kind=compiled arch=gfx1201 opt=O3
	.text
	.amdgcn_target "amdgcn-amd-amdhsa--gfx1201"
	.amdhsa_code_object_version 6
	.protected	fft_rtc_back_len1540_factors_11_2_7_5_2_wgs_154_tpt_154_halfLds_half_op_CI_CI_unitstride_sbrr_dirReg ; -- Begin function fft_rtc_back_len1540_factors_11_2_7_5_2_wgs_154_tpt_154_halfLds_half_op_CI_CI_unitstride_sbrr_dirReg
	.globl	fft_rtc_back_len1540_factors_11_2_7_5_2_wgs_154_tpt_154_halfLds_half_op_CI_CI_unitstride_sbrr_dirReg
	.p2align	8
	.type	fft_rtc_back_len1540_factors_11_2_7_5_2_wgs_154_tpt_154_halfLds_half_op_CI_CI_unitstride_sbrr_dirReg,@function
fft_rtc_back_len1540_factors_11_2_7_5_2_wgs_154_tpt_154_halfLds_half_op_CI_CI_unitstride_sbrr_dirReg: ; @fft_rtc_back_len1540_factors_11_2_7_5_2_wgs_154_tpt_154_halfLds_half_op_CI_CI_unitstride_sbrr_dirReg
; %bb.0:
	s_clause 0x2
	s_load_b128 s[8:11], s[0:1], 0x0
	s_load_b128 s[4:7], s[0:1], 0x58
	;; [unrolled: 1-line block ×3, first 2 shown]
	v_mul_u32_u24_e32 v1, 0x1aa, v0
	v_mov_b32_e32 v5, 0
	v_mov_b32_e32 v7, 0
	;; [unrolled: 1-line block ×3, first 2 shown]
	s_delay_alu instid0(VALU_DEP_4) | instskip(NEXT) | instid1(VALU_DEP_1)
	v_lshrrev_b32_e32 v1, 16, v1
	v_dual_mov_b32 v10, v5 :: v_dual_add_nc_u32 v9, ttmp9, v1
	s_wait_kmcnt 0x0
	v_cmp_lt_u64_e64 s2, s[10:11], 2
	s_delay_alu instid0(VALU_DEP_1)
	s_and_b32 vcc_lo, exec_lo, s2
	s_cbranch_vccnz .LBB0_8
; %bb.1:
	s_load_b64 s[2:3], s[0:1], 0x10
	v_mov_b32_e32 v7, 0
	v_mov_b32_e32 v8, 0
	s_delay_alu instid0(VALU_DEP_2)
	v_mov_b32_e32 v1, v7
	s_add_nc_u64 s[16:17], s[14:15], 8
	s_add_nc_u64 s[18:19], s[12:13], 8
	s_mov_b64 s[20:21], 1
	v_mov_b32_e32 v2, v8
	s_wait_kmcnt 0x0
	s_add_nc_u64 s[22:23], s[2:3], 8
	s_mov_b32 s3, 0
.LBB0_2:                                ; =>This Inner Loop Header: Depth=1
	s_load_b64 s[24:25], s[22:23], 0x0
                                        ; implicit-def: $vgpr3_vgpr4
	s_mov_b32 s2, exec_lo
	s_wait_kmcnt 0x0
	v_or_b32_e32 v6, s25, v10
	s_delay_alu instid0(VALU_DEP_1)
	v_cmpx_ne_u64_e32 0, v[5:6]
	s_wait_alu 0xfffe
	s_xor_b32 s26, exec_lo, s2
	s_cbranch_execz .LBB0_4
; %bb.3:                                ;   in Loop: Header=BB0_2 Depth=1
	s_cvt_f32_u32 s2, s24
	s_cvt_f32_u32 s27, s25
	s_sub_nc_u64 s[30:31], 0, s[24:25]
	s_wait_alu 0xfffe
	s_delay_alu instid0(SALU_CYCLE_1) | instskip(SKIP_1) | instid1(SALU_CYCLE_2)
	s_fmamk_f32 s2, s27, 0x4f800000, s2
	s_wait_alu 0xfffe
	v_s_rcp_f32 s2, s2
	s_delay_alu instid0(TRANS32_DEP_1) | instskip(SKIP_1) | instid1(SALU_CYCLE_2)
	s_mul_f32 s2, s2, 0x5f7ffffc
	s_wait_alu 0xfffe
	s_mul_f32 s27, s2, 0x2f800000
	s_wait_alu 0xfffe
	s_delay_alu instid0(SALU_CYCLE_2) | instskip(SKIP_1) | instid1(SALU_CYCLE_2)
	s_trunc_f32 s27, s27
	s_wait_alu 0xfffe
	s_fmamk_f32 s2, s27, 0xcf800000, s2
	s_cvt_u32_f32 s29, s27
	s_wait_alu 0xfffe
	s_delay_alu instid0(SALU_CYCLE_1) | instskip(SKIP_1) | instid1(SALU_CYCLE_2)
	s_cvt_u32_f32 s28, s2
	s_wait_alu 0xfffe
	s_mul_u64 s[34:35], s[30:31], s[28:29]
	s_wait_alu 0xfffe
	s_mul_hi_u32 s37, s28, s35
	s_mul_i32 s36, s28, s35
	s_mul_hi_u32 s2, s28, s34
	s_mul_i32 s33, s29, s34
	s_wait_alu 0xfffe
	s_add_nc_u64 s[36:37], s[2:3], s[36:37]
	s_mul_hi_u32 s27, s29, s34
	s_mul_hi_u32 s38, s29, s35
	s_add_co_u32 s2, s36, s33
	s_wait_alu 0xfffe
	s_add_co_ci_u32 s2, s37, s27
	s_mul_i32 s34, s29, s35
	s_add_co_ci_u32 s35, s38, 0
	s_wait_alu 0xfffe
	s_add_nc_u64 s[34:35], s[2:3], s[34:35]
	s_wait_alu 0xfffe
	v_add_co_u32 v3, s2, s28, s34
	s_delay_alu instid0(VALU_DEP_1) | instskip(SKIP_1) | instid1(VALU_DEP_1)
	s_cmp_lg_u32 s2, 0
	s_add_co_ci_u32 s29, s29, s35
	v_readfirstlane_b32 s28, v3
	s_wait_alu 0xfffe
	s_delay_alu instid0(VALU_DEP_1)
	s_mul_u64 s[30:31], s[30:31], s[28:29]
	s_wait_alu 0xfffe
	s_mul_hi_u32 s35, s28, s31
	s_mul_i32 s34, s28, s31
	s_mul_hi_u32 s2, s28, s30
	s_mul_i32 s33, s29, s30
	s_wait_alu 0xfffe
	s_add_nc_u64 s[34:35], s[2:3], s[34:35]
	s_mul_hi_u32 s27, s29, s30
	s_mul_hi_u32 s28, s29, s31
	s_wait_alu 0xfffe
	s_add_co_u32 s2, s34, s33
	s_add_co_ci_u32 s2, s35, s27
	s_mul_i32 s30, s29, s31
	s_add_co_ci_u32 s31, s28, 0
	s_wait_alu 0xfffe
	s_add_nc_u64 s[30:31], s[2:3], s[30:31]
	s_wait_alu 0xfffe
	v_add_co_u32 v6, s2, v3, s30
	s_delay_alu instid0(VALU_DEP_1) | instskip(SKIP_1) | instid1(VALU_DEP_1)
	s_cmp_lg_u32 s2, 0
	s_add_co_ci_u32 s2, s29, s31
	v_mul_hi_u32 v15, v9, v6
	s_wait_alu 0xfffe
	v_mad_co_u64_u32 v[3:4], null, v9, s2, 0
	v_mad_co_u64_u32 v[11:12], null, v10, v6, 0
	;; [unrolled: 1-line block ×3, first 2 shown]
	s_delay_alu instid0(VALU_DEP_3) | instskip(SKIP_1) | instid1(VALU_DEP_4)
	v_add_co_u32 v3, vcc_lo, v15, v3
	s_wait_alu 0xfffd
	v_add_co_ci_u32_e32 v4, vcc_lo, 0, v4, vcc_lo
	s_delay_alu instid0(VALU_DEP_2) | instskip(SKIP_1) | instid1(VALU_DEP_2)
	v_add_co_u32 v3, vcc_lo, v3, v11
	s_wait_alu 0xfffd
	v_add_co_ci_u32_e32 v3, vcc_lo, v4, v12, vcc_lo
	s_wait_alu 0xfffd
	v_add_co_ci_u32_e32 v4, vcc_lo, 0, v14, vcc_lo
	s_delay_alu instid0(VALU_DEP_2) | instskip(SKIP_1) | instid1(VALU_DEP_2)
	v_add_co_u32 v6, vcc_lo, v3, v13
	s_wait_alu 0xfffd
	v_add_co_ci_u32_e32 v11, vcc_lo, 0, v4, vcc_lo
	s_delay_alu instid0(VALU_DEP_2) | instskip(SKIP_1) | instid1(VALU_DEP_3)
	v_mul_lo_u32 v12, s25, v6
	v_mad_co_u64_u32 v[3:4], null, s24, v6, 0
	v_mul_lo_u32 v13, s24, v11
	s_delay_alu instid0(VALU_DEP_2) | instskip(NEXT) | instid1(VALU_DEP_2)
	v_sub_co_u32 v3, vcc_lo, v9, v3
	v_add3_u32 v4, v4, v13, v12
	s_delay_alu instid0(VALU_DEP_1) | instskip(SKIP_1) | instid1(VALU_DEP_1)
	v_sub_nc_u32_e32 v12, v10, v4
	s_wait_alu 0xfffd
	v_subrev_co_ci_u32_e64 v12, s2, s25, v12, vcc_lo
	v_add_co_u32 v13, s2, v6, 2
	s_wait_alu 0xf1ff
	v_add_co_ci_u32_e64 v14, s2, 0, v11, s2
	v_sub_co_u32 v15, s2, v3, s24
	v_sub_co_ci_u32_e32 v4, vcc_lo, v10, v4, vcc_lo
	s_wait_alu 0xf1ff
	v_subrev_co_ci_u32_e64 v12, s2, 0, v12, s2
	s_delay_alu instid0(VALU_DEP_3) | instskip(NEXT) | instid1(VALU_DEP_3)
	v_cmp_le_u32_e32 vcc_lo, s24, v15
	v_cmp_eq_u32_e64 s2, s25, v4
	s_wait_alu 0xfffd
	v_cndmask_b32_e64 v15, 0, -1, vcc_lo
	v_cmp_le_u32_e32 vcc_lo, s25, v12
	s_wait_alu 0xfffd
	v_cndmask_b32_e64 v16, 0, -1, vcc_lo
	v_cmp_le_u32_e32 vcc_lo, s24, v3
	;; [unrolled: 3-line block ×3, first 2 shown]
	s_wait_alu 0xfffd
	v_cndmask_b32_e64 v17, 0, -1, vcc_lo
	v_cmp_eq_u32_e32 vcc_lo, s25, v12
	s_wait_alu 0xf1ff
	s_delay_alu instid0(VALU_DEP_2)
	v_cndmask_b32_e64 v3, v17, v3, s2
	s_wait_alu 0xfffd
	v_cndmask_b32_e32 v12, v16, v15, vcc_lo
	v_add_co_u32 v15, vcc_lo, v6, 1
	s_wait_alu 0xfffd
	v_add_co_ci_u32_e32 v16, vcc_lo, 0, v11, vcc_lo
	s_delay_alu instid0(VALU_DEP_3) | instskip(SKIP_2) | instid1(VALU_DEP_3)
	v_cmp_ne_u32_e32 vcc_lo, 0, v12
	s_wait_alu 0xfffd
	v_cndmask_b32_e32 v12, v15, v13, vcc_lo
	v_cndmask_b32_e32 v4, v16, v14, vcc_lo
	v_cmp_ne_u32_e32 vcc_lo, 0, v3
	s_wait_alu 0xfffd
	s_delay_alu instid0(VALU_DEP_3) | instskip(NEXT) | instid1(VALU_DEP_3)
	v_cndmask_b32_e32 v3, v6, v12, vcc_lo
	v_cndmask_b32_e32 v4, v11, v4, vcc_lo
.LBB0_4:                                ;   in Loop: Header=BB0_2 Depth=1
	s_wait_alu 0xfffe
	s_and_not1_saveexec_b32 s2, s26
	s_cbranch_execz .LBB0_6
; %bb.5:                                ;   in Loop: Header=BB0_2 Depth=1
	v_cvt_f32_u32_e32 v3, s24
	s_sub_co_i32 s26, 0, s24
	s_delay_alu instid0(VALU_DEP_1) | instskip(NEXT) | instid1(TRANS32_DEP_1)
	v_rcp_iflag_f32_e32 v3, v3
	v_mul_f32_e32 v3, 0x4f7ffffe, v3
	s_delay_alu instid0(VALU_DEP_1) | instskip(SKIP_1) | instid1(VALU_DEP_1)
	v_cvt_u32_f32_e32 v3, v3
	s_wait_alu 0xfffe
	v_mul_lo_u32 v4, s26, v3
	s_delay_alu instid0(VALU_DEP_1) | instskip(NEXT) | instid1(VALU_DEP_1)
	v_mul_hi_u32 v4, v3, v4
	v_add_nc_u32_e32 v3, v3, v4
	s_delay_alu instid0(VALU_DEP_1) | instskip(NEXT) | instid1(VALU_DEP_1)
	v_mul_hi_u32 v3, v9, v3
	v_mul_lo_u32 v4, v3, s24
	v_add_nc_u32_e32 v6, 1, v3
	s_delay_alu instid0(VALU_DEP_2) | instskip(NEXT) | instid1(VALU_DEP_1)
	v_sub_nc_u32_e32 v4, v9, v4
	v_subrev_nc_u32_e32 v11, s24, v4
	v_cmp_le_u32_e32 vcc_lo, s24, v4
	s_wait_alu 0xfffd
	s_delay_alu instid0(VALU_DEP_2) | instskip(NEXT) | instid1(VALU_DEP_1)
	v_dual_cndmask_b32 v4, v4, v11 :: v_dual_cndmask_b32 v3, v3, v6
	v_cmp_le_u32_e32 vcc_lo, s24, v4
	s_delay_alu instid0(VALU_DEP_2) | instskip(SKIP_1) | instid1(VALU_DEP_1)
	v_add_nc_u32_e32 v6, 1, v3
	s_wait_alu 0xfffd
	v_dual_mov_b32 v4, v5 :: v_dual_cndmask_b32 v3, v3, v6
.LBB0_6:                                ;   in Loop: Header=BB0_2 Depth=1
	s_wait_alu 0xfffe
	s_or_b32 exec_lo, exec_lo, s2
	s_delay_alu instid0(VALU_DEP_1) | instskip(NEXT) | instid1(VALU_DEP_2)
	v_mul_lo_u32 v6, v4, s24
	v_mul_lo_u32 v13, v3, s25
	s_load_b64 s[26:27], s[18:19], 0x0
	v_mad_co_u64_u32 v[11:12], null, v3, s24, 0
	s_load_b64 s[24:25], s[16:17], 0x0
	s_add_nc_u64 s[20:21], s[20:21], 1
	s_add_nc_u64 s[16:17], s[16:17], 8
	s_wait_alu 0xfffe
	v_cmp_ge_u64_e64 s2, s[20:21], s[10:11]
	s_add_nc_u64 s[18:19], s[18:19], 8
	s_add_nc_u64 s[22:23], s[22:23], 8
	v_add3_u32 v6, v12, v13, v6
	v_sub_co_u32 v9, vcc_lo, v9, v11
	s_wait_alu 0xfffd
	s_delay_alu instid0(VALU_DEP_2) | instskip(SKIP_2) | instid1(VALU_DEP_1)
	v_sub_co_ci_u32_e32 v6, vcc_lo, v10, v6, vcc_lo
	s_and_b32 vcc_lo, exec_lo, s2
	s_wait_kmcnt 0x0
	v_mul_lo_u32 v10, s26, v6
	v_mul_lo_u32 v11, s27, v9
	v_mad_co_u64_u32 v[7:8], null, s26, v9, v[7:8]
	v_mul_lo_u32 v6, s24, v6
	v_mul_lo_u32 v12, s25, v9
	v_mad_co_u64_u32 v[1:2], null, s24, v9, v[1:2]
	s_delay_alu instid0(VALU_DEP_4) | instskip(NEXT) | instid1(VALU_DEP_2)
	v_add3_u32 v8, v11, v8, v10
	v_add3_u32 v2, v12, v2, v6
	s_wait_alu 0xfffe
	s_cbranch_vccnz .LBB0_9
; %bb.7:                                ;   in Loop: Header=BB0_2 Depth=1
	v_dual_mov_b32 v10, v4 :: v_dual_mov_b32 v9, v3
	s_branch .LBB0_2
.LBB0_8:
	v_dual_mov_b32 v1, v7 :: v_dual_mov_b32 v2, v8
	v_dual_mov_b32 v3, v9 :: v_dual_mov_b32 v4, v10
.LBB0_9:
	s_load_b64 s[0:1], s[0:1], 0x28
	v_mul_hi_u32 v5, 0x1a98ef7, v0
	v_mov_b32_e32 v9, 0
	v_mov_b32_e32 v19, 0
	s_lshl_b64 s[2:3], s[10:11], 3
                                        ; implicit-def: $vgpr29
                                        ; implicit-def: $vgpr14
                                        ; implicit-def: $vgpr28
                                        ; implicit-def: $vgpr17
                                        ; implicit-def: $vgpr27
                                        ; implicit-def: $vgpr15
                                        ; implicit-def: $vgpr26
                                        ; implicit-def: $vgpr25
                                        ; implicit-def: $vgpr11
                                        ; implicit-def: $vgpr24
                                        ; implicit-def: $vgpr16
                                        ; implicit-def: $vgpr23
                                        ; implicit-def: $vgpr18
                                        ; implicit-def: $vgpr13
                                        ; implicit-def: $vgpr20
                                        ; implicit-def: $vgpr12
                                        ; implicit-def: $vgpr21
                                        ; implicit-def: $vgpr10
                                        ; implicit-def: $vgpr22
	s_delay_alu instid0(VALU_DEP_3) | instskip(NEXT) | instid1(VALU_DEP_1)
	v_mul_u32_u24_e32 v5, 0x9a, v5
	v_sub_nc_u32_e32 v5, v0, v5
                                        ; implicit-def: $vgpr0
	s_wait_kmcnt 0x0
	v_cmp_gt_u64_e32 vcc_lo, s[0:1], v[3:4]
	s_delay_alu instid0(VALU_DEP_2) | instskip(NEXT) | instid1(VALU_DEP_1)
	v_cmp_gt_u32_e64 s0, 0x8c, v5
	s_and_b32 s1, vcc_lo, s0
	s_wait_alu 0xfffe
	s_and_saveexec_b32 s10, s1
	s_cbranch_execz .LBB0_11
; %bb.10:
	s_add_nc_u64 s[12:13], s[12:13], s[2:3]
	v_lshlrev_b64_e32 v[7:8], 2, v[7:8]
	s_load_b64 s[12:13], s[12:13], 0x0
	s_wait_kmcnt 0x0
	v_mul_lo_u32 v0, s13, v3
	v_mul_lo_u32 v6, s12, v4
	v_mad_co_u64_u32 v[9:10], null, s12, v3, 0
	s_delay_alu instid0(VALU_DEP_1) | instskip(SKIP_1) | instid1(VALU_DEP_2)
	v_add3_u32 v10, v10, v6, v0
	v_mov_b32_e32 v6, 0
	v_lshlrev_b64_e32 v[9:10], 2, v[9:10]
	s_delay_alu instid0(VALU_DEP_1) | instskip(SKIP_1) | instid1(VALU_DEP_2)
	v_add_co_u32 v0, s1, s4, v9
	s_wait_alu 0xf1ff
	v_add_co_ci_u32_e64 v11, s1, s5, v10, s1
	v_lshlrev_b64_e32 v[9:10], 2, v[5:6]
	s_delay_alu instid0(VALU_DEP_3) | instskip(SKIP_1) | instid1(VALU_DEP_3)
	v_add_co_u32 v0, s1, v0, v7
	s_wait_alu 0xf1ff
	v_add_co_ci_u32_e64 v7, s1, v11, v8, s1
	s_delay_alu instid0(VALU_DEP_2) | instskip(SKIP_1) | instid1(VALU_DEP_2)
	v_add_co_u32 v6, s1, v0, v9
	s_wait_alu 0xf1ff
	v_add_co_ci_u32_e64 v7, s1, v7, v10, s1
	s_clause 0xa
	global_load_b32 v19, v[6:7], off
	global_load_b32 v14, v[6:7], off offset:560
	global_load_b32 v17, v[6:7], off offset:1120
	;; [unrolled: 1-line block ×10, first 2 shown]
	s_wait_loadcnt 0xa
	v_lshrrev_b32_e32 v9, 16, v19
	s_wait_loadcnt 0x9
	v_lshrrev_b32_e32 v29, 16, v14
	;; [unrolled: 2-line block ×11, first 2 shown]
.LBB0_11:
	s_wait_alu 0xfffe
	s_or_b32 exec_lo, exec_lo, s10
	s_delay_alu instid0(VALU_DEP_1)
	v_sub_f16_e32 v33, v29, v10
	v_add_f16_e32 v7, v14, v22
	v_sub_f16_e32 v35, v28, v12
	v_add_f16_e32 v8, v17, v21
	v_sub_f16_e32 v38, v27, v13
	v_mul_f16_e32 v34, 0xb853, v33
	v_add_f16_e32 v30, v15, v20
	v_mul_f16_e32 v36, 0xbb47, v35
	v_sub_f16_e32 v41, v26, v23
	v_mul_f16_e32 v40, 0xbbeb, v38
	v_fma_f16 v6, v7, 0x3abb, -v34
	v_add_f16_e32 v31, v0, v18
	v_fma_f16 v32, v8, 0x36a6, -v36
	v_mul_f16_e32 v37, 0xba0c, v41
	v_fma_f16 v39, v30, 0xb08e, -v40
	v_add_f16_e32 v6, v19, v6
	v_sub_f16_e32 v42, v25, v24
	s_delay_alu instid0(VALU_DEP_4) | instskip(NEXT) | instid1(VALU_DEP_3)
	v_fma_f16 v43, v31, 0xb93d, -v37
	v_add_f16_e32 v6, v32, v6
	v_add_f16_e32 v32, v11, v16
	s_delay_alu instid0(VALU_DEP_2) | instskip(SKIP_1) | instid1(VALU_DEP_2)
	v_add_f16_e32 v6, v39, v6
	v_mul_f16_e32 v39, 0xb482, v42
	v_add_f16_e32 v6, v43, v6
	s_delay_alu instid0(VALU_DEP_2) | instskip(NEXT) | instid1(VALU_DEP_1)
	v_fma_f16 v43, v32, 0xbbad, -v39
	v_add_f16_e32 v6, v43, v6
	s_and_saveexec_b32 s1, s0
	s_cbranch_execz .LBB0_13
; %bb.12:
	v_mul_f16_e32 v44, 0x3abb, v7
	v_add_f16_e32 v43, v19, v14
	v_mul_f16_e32 v45, 0x36a6, v8
	v_mul_f16_e32 v46, 0xb08e, v30
	;; [unrolled: 1-line block ×3, first 2 shown]
	v_add_f16_e32 v34, v34, v44
	v_add_f16_e32 v43, v43, v17
	;; [unrolled: 1-line block ×4, first 2 shown]
	v_mul_f16_e32 v48, 0xbbad, v32
	v_add_f16_e32 v34, v19, v34
	v_add_f16_e32 v43, v43, v15
	v_pk_mul_f16 v49, 0xb482ba0c, v33 op_sel_hi:[1,0]
	v_add_f16_e32 v37, v37, v47
	v_pk_mul_f16 v33, 0xbbebbb47, v33 op_sel_hi:[1,0]
	v_add_f16_e32 v34, v36, v34
	v_add_f16_e32 v43, v43, v0
	v_pk_mul_f16 v50, 0x38533beb, v35 op_sel_hi:[1,0]
	v_add_f16_e32 v39, v39, v48
	v_pk_mul_f16 v35, 0x3482ba0c, v35 op_sel_hi:[1,0]
	v_add_f16_e32 v34, v40, v34
	v_add_f16_e32 v43, v43, v11
	v_pk_fma_f16 v44, 0xb08e36a6, v7, v33 op_sel_hi:[1,0,1]
	v_pk_fma_f16 v33, 0xb08e36a6, v7, v33 op_sel_hi:[1,0,1] neg_lo:[0,0,1] neg_hi:[0,0,1]
	v_pk_mul_f16 v51, 0xba0cb853, v38 op_sel_hi:[1,0]
	v_add_f16_e32 v34, v37, v34
	v_pk_fma_f16 v37, 0xbbadb93d, v7, v49 op_sel_hi:[1,0,1] neg_lo:[0,0,1] neg_hi:[0,0,1]
	v_add_f16_e32 v43, v43, v16
	v_pk_fma_f16 v7, 0xbbadb93d, v7, v49 op_sel_hi:[1,0,1]
	v_pk_mul_f16 v38, 0x3b473482, v38 op_sel_hi:[1,0]
	v_add_f16_e32 v34, v39, v34
	v_pk_add_f16 v37, v19, v37 op_sel_hi:[0,1]
	v_pk_fma_f16 v39, 0x3abbb08e, v8, v50 op_sel_hi:[1,0,1] neg_lo:[0,0,1] neg_hi:[0,0,1]
	v_pk_fma_f16 v45, 0xbbadb93d, v8, v35 op_sel_hi:[1,0,1]
	v_pk_add_f16 v33, v19, v33 op_sel_hi:[0,1]
	v_pk_fma_f16 v35, 0xbbadb93d, v8, v35 op_sel_hi:[1,0,1] neg_lo:[0,0,1] neg_hi:[0,0,1]
	v_pk_mul_f16 v52, 0x3b47b482, v41 op_sel_hi:[1,0]
	v_pk_add_f16 v44, v19, v44 op_sel_hi:[0,1]
	v_add_f16_e32 v36, v43, v18
	v_pk_add_f16 v7, v19, v7 op_sel_hi:[0,1]
	v_pk_fma_f16 v8, 0x3abbb08e, v8, v50 op_sel_hi:[1,0,1]
	v_pk_add_f16 v19, v39, v37
	v_pk_fma_f16 v37, 0xb93d3abb, v30, v51 op_sel_hi:[1,0,1] neg_lo:[0,0,1] neg_hi:[0,0,1]
	v_pk_mul_f16 v41, 0xb8533beb, v41 op_sel_hi:[1,0]
	v_pk_add_f16 v33, v35, v33
	v_pk_fma_f16 v35, 0x36a6bbad, v30, v38 op_sel_hi:[1,0,1] neg_lo:[0,0,1] neg_hi:[0,0,1]
	v_pk_mul_f16 v53, 0xbbeb3b47, v42 op_sel_hi:[1,0]
	v_pk_fma_f16 v43, 0x36a6bbad, v30, v38 op_sel_hi:[1,0,1]
	v_pk_add_f16 v44, v45, v44
	v_add_f16_e32 v36, v36, v20
	v_pk_add_f16 v7, v8, v7
	v_pk_fma_f16 v8, 0xb93d3abb, v30, v51 op_sel_hi:[1,0,1]
	v_pk_add_f16 v19, v37, v19
	v_pk_fma_f16 v30, 0x36a6bbad, v31, v52 op_sel_hi:[1,0,1] neg_lo:[0,0,1] neg_hi:[0,0,1]
	v_pk_mul_f16 v42, 0xba0c3853, v42 op_sel_hi:[1,0]
	v_pk_add_f16 v33, v35, v33
	v_pk_fma_f16 v35, 0x3abbb08e, v31, v41 op_sel_hi:[1,0,1] neg_lo:[0,0,1] neg_hi:[0,0,1]
	v_pk_fma_f16 v40, 0x3abbb08e, v31, v41 op_sel_hi:[1,0,1]
	v_pk_add_f16 v43, v43, v44
	v_add_f16_e32 v36, v36, v21
	v_pk_add_f16 v7, v8, v7
	v_pk_fma_f16 v8, 0x36a6bbad, v31, v52 op_sel_hi:[1,0,1]
	v_pk_add_f16 v19, v30, v19
	v_pk_fma_f16 v30, 0xb08e36a6, v32, v53 op_sel_hi:[1,0,1] neg_lo:[0,0,1] neg_hi:[0,0,1]
	v_pk_add_f16 v31, v35, v33
	v_pk_fma_f16 v33, 0xb93d3abb, v32, v42 op_sel_hi:[1,0,1] neg_lo:[0,0,1] neg_hi:[0,0,1]
	v_pk_fma_f16 v45, 0xb93d3abb, v32, v42 op_sel_hi:[1,0,1]
	v_pk_add_f16 v40, v40, v43
	v_add_f16_e32 v36, v36, v22
	v_pk_add_f16 v7, v8, v7
	v_pk_fma_f16 v8, 0xb08e36a6, v32, v53 op_sel_hi:[1,0,1]
	v_pk_add_f16 v19, v30, v19
	v_pk_add_f16 v37, v33, v31
	v_mad_u32_u24 v35, v5, 22, 0
	v_pk_add_f16 v31, v45, v40
	v_pk_add_f16 v32, v8, v7
	v_alignbit_b32 v33, v19, v19, 16
	v_pack_b32_f16 v30, v36, v34
	v_alignbit_b32 v7, v37, v37, 16
	ds_store_b128 v35, v[30:33]
	ds_store_b32 v35, v7 offset:16
	ds_store_b16 v35, v6 offset:20
.LBB0_13:
	s_wait_alu 0xfffe
	s_or_b32 exec_lo, exec_lo, s1
	v_add_f16_e32 v32, v29, v10
	v_sub_f16_e32 v41, v14, v22
	v_add_f16_e32 v31, v28, v12
	v_sub_f16_e32 v38, v17, v21
	v_sub_f16_e32 v46, v0, v18
	v_pk_mul_f16 v35, 0x36a63abb, v32 op_sel_hi:[1,0]
	v_pk_mul_f16 v36, 0xbb47b853, v41 op_sel_hi:[1,0]
	;; [unrolled: 1-line block ×4, first 2 shown]
	v_lshl_add_u32 v0, v5, 1, 0
	v_add_f16_e32 v33, v27, v13
	v_add_f16_e32 v7, v35, v36
	v_sub_f16_e32 v43, v15, v20
	v_add_f16_e32 v14, v37, v39
	v_sub_f16_e32 v30, v11, v16
	global_wb scope:SCOPE_SE
	s_wait_dscnt 0x0
	v_add_f16_e32 v7, v9, v7
	s_barrier_signal -1
	s_barrier_wait -1
	global_inv scope:SCOPE_SE
	v_add_f16_e32 v34, v26, v23
	v_add_f16_e32 v7, v14, v7
	ds_load_u16 v11, v0 offset:1848
	ds_load_u16 v14, v0 offset:2156
	ds_load_u16 v18, v0
	ds_load_u16 v19, v0 offset:308
	ds_load_u16 v20, v0 offset:616
	;; [unrolled: 1-line block ×7, first 2 shown]
	v_pk_mul_f16 v40, 0xbbadb08e, v33 op_sel_hi:[1,0]
	v_pk_mul_f16 v42, 0x3482bbeb, v43 op_sel_hi:[1,0]
	v_add_f16_e32 v8, v25, v24
	v_pk_mul_f16 v44, 0xb08eb93d, v34 op_sel_hi:[1,0]
	v_pk_mul_f16 v45, 0x3bebba0c, v46 op_sel_hi:[1,0]
	;; [unrolled: 1-line block ×3, first 2 shown]
	v_add_f16_e32 v47, v40, v42
	s_add_nc_u64 s[2:3], s[14:15], s[2:3]
	global_wb scope:SCOPE_SE
	s_wait_dscnt 0x0
	v_add_f16_e32 v49, v44, v45
	s_barrier_signal -1
	v_add_f16_e32 v7, v47, v7
	v_pk_mul_f16 v47, 0x3abbbbad, v8 op_sel_hi:[1,0]
	s_barrier_wait -1
	global_inv scope:SCOPE_SE
	v_add_f16_e32 v7, v49, v7
	v_add_f16_e32 v49, v47, v48
	s_delay_alu instid0(VALU_DEP_1)
	v_add_f16_e32 v7, v49, v7
	s_and_saveexec_b32 s1, s0
	s_cbranch_execz .LBB0_15
; %bb.14:
	v_add_f16_e32 v29, v9, v29
	v_pack_b32_f16 v50, v41, v41
	v_mul_f16_e32 v41, 0xb482, v41
	v_pack_b32_f16 v49, v32, v32
	v_pack_b32_f16 v52, v38, v38
	v_add_f16_e32 v28, v29, v28
	v_mul_f16_e32 v57, 0xbbad, v32
	v_mul_f16_e32 v38, 0x3853, v38
	v_pk_add_f16 v35, v35, v36 neg_lo:[0,1] neg_hi:[0,1]
	v_fma_f16 v32, v32, 0xbbad, -v41
	v_add_f16_e32 v27, v28, v27
	v_pack_b32_f16 v53, v43, v43
	v_pack_b32_f16 v55, v46, v46
	v_mul_f16_e32 v43, 0xba0c, v43
	v_mul_f16_e32 v46, 0x3b47, v46
	v_add_f16_e32 v26, v27, v26
	v_pk_add_f16 v36, v37, v39 neg_lo:[0,1] neg_hi:[0,1]
	v_pk_add_f16 v35, v9, v35 op_sel_hi:[0,1]
	v_add_f16_e32 v32, v9, v32
	v_pack_b32_f16 v51, v31, v31
	v_add_f16_e32 v25, v26, v25
	v_pack_b32_f16 v29, v33, v33
	v_pack_b32_f16 v54, v34, v34
	v_mul_f16_e32 v27, 0x3abb, v31
	v_mul_f16_e32 v58, 0xb93d, v33
	v_add_f16_e32 v24, v25, v24
	v_mul_f16_e32 v26, 0x36a6, v34
	v_pk_add_f16 v25, v40, v42 neg_lo:[0,1] neg_hi:[0,1]
	v_pk_add_f16 v37, v44, v45 neg_lo:[0,1] neg_hi:[0,1]
	v_pk_mul_f16 v40, 0xba0c3482, v52
	v_add_f16_e32 v23, v24, v23
	v_fma_f16 v24, v31, 0x3abb, -v38
	v_fma_f16 v31, v33, 0xb93d, -v43
	v_pk_add_f16 v33, v36, v35
	v_pk_mul_f16 v36, 0xbb47bbeb, v50
	v_add_f16_e32 v13, v23, v13
	v_fma_f16 v23, v34, 0x36a6, -v46
	v_pk_mul_f16 v34, 0xba0cbbeb, v50
	v_add_f16_e32 v24, v24, v32
	v_pk_add_f16 v25, v25, v33
	v_add_f16_e32 v12, v13, v12
	v_pk_mul_f16 v13, 0x3beb3482, v52
	v_pk_fma_f16 v32, 0xb93db08e, v49, v34 neg_lo:[0,0,1] neg_hi:[0,0,1]
	v_add_f16_e32 v24, v31, v24
	v_pk_add_f16 v25, v37, v25
	v_add_f16_e32 v10, v12, v10
	v_pk_add_f16 v12, v47, v48 neg_lo:[0,1] neg_hi:[0,1]
	v_pk_add_f16 v31, v9, v32 op_sel_hi:[0,1]
	v_pk_fma_f16 v32, 0xb08ebbad, v51, v13 neg_lo:[0,0,1] neg_hi:[0,0,1]
	v_add_f16_e32 v23, v23, v24
	v_pk_mul_f16 v24, 0xb93db08e, v49
	v_pk_mul_f16 v33, 0xb8533b47, v53
	v_pk_add_f16 v12, v12, v25
	v_pk_add_f16 v25, v32, v31
	v_pk_mul_f16 v32, 0xb08ebbad, v51
	v_bfi_b32 v24, 0xffff, v57, v24
	v_bfi_b32 v34, 0xffff, v41, v34
	v_pk_fma_f16 v31, 0x3abb36a6, v29, v33 neg_lo:[0,0,1] neg_hi:[0,0,1]
	v_pk_mul_f16 v35, 0xb482b853, v55
	v_pk_mul_f16 v37, 0x3abb36a6, v29
	v_pk_fma_f16 v36, 0x36a6b08e, v49, v36
	v_pk_add_f16 v24, v24, v34
	v_bfi_b32 v27, 0xffff, v27, v32
	v_bfi_b32 v13, 0xffff, v38, v13
	v_pk_add_f16 v25, v31, v25
	v_pk_fma_f16 v39, 0xbbad3abb, v54, v35 neg_lo:[0,0,1] neg_hi:[0,0,1]
	v_pack_b32_f16 v28, v8, v8
	v_pack_b32_f16 v56, v30, v30
	v_pk_mul_f16 v31, 0xbbad3abb, v54
	v_pk_add_f16 v36, v9, v36 op_sel_hi:[0,1]
	v_pk_add_f16 v9, v9, v24 op_sel_hi:[0,1]
	v_pk_add_f16 v13, v27, v13
	v_bfi_b32 v24, 0xffff, v58, v37
	v_bfi_b32 v27, 0xffff, v43, v33
	v_pk_add_f16 v25, v39, v25
	v_pk_fma_f16 v39, 0xb93dbbad, v51, v40
	v_pk_mul_f16 v40, 0x34823b47, v53
	v_pk_mul_f16 v32, 0x3b47ba0c, v56
	;; [unrolled: 1-line block ×3, first 2 shown]
	v_pk_add_f16 v9, v13, v9
	v_pk_add_f16 v13, v24, v27
	v_bfi_b32 v24, 0xffff, v26, v31
	v_bfi_b32 v26, 0xffff, v46, v35
	v_mul_f16_e32 v27, 0xb08e, v8
	v_mul_f16_e32 v30, 0xbbeb, v30
	v_pk_add_f16 v34, v39, v36
	v_pk_fma_f16 v29, 0xbbad36a6, v29, v40
	v_pk_mul_f16 v31, 0x3bebb853, v55
	v_pk_fma_f16 v36, 0x36a6b93d, v28, v32 neg_lo:[0,0,1] neg_hi:[0,0,1]
	v_pk_add_f16 v9, v13, v9
	v_pk_add_f16 v13, v24, v26
	v_bfi_b32 v24, 0xffff, v27, v33
	v_bfi_b32 v26, 0xffff, v30, v32
	v_fma_f16 v8, v8, 0xb08e, -v30
	v_pk_add_f16 v29, v29, v34
	v_pk_fma_f16 v27, 0xb08e3abb, v54, v31
	v_pk_mul_f16 v30, 0x3853ba0c, v56
	v_pk_add_f16 v9, v13, v9
	v_pk_add_f16 v13, v24, v26
	;; [unrolled: 1-line block ×3, first 2 shown]
	v_add_f16_e32 v8, v8, v23
	v_pk_add_f16 v27, v27, v29
	v_pk_fma_f16 v28, 0x3abbb93d, v28, v30
	v_pk_add_f16 v26, v13, v9
	v_mad_u32_u24 v9, v5, 20, v0
	v_alignbit_b32 v25, v8, v24, 16
	v_alignbit_b32 v24, v24, v12, 16
	v_pack_b32_f16 v23, v10, v12
	v_pk_add_f16 v8, v28, v27
	ds_store_b128 v9, v[23:26]
	ds_store_b32 v9, v8 offset:16
	ds_store_b16 v9, v7 offset:20
.LBB0_15:
	s_wait_alu 0xfffe
	s_or_b32 exec_lo, exec_lo, s1
	v_and_b32_e32 v8, 0xff, v5
	v_add_nc_u32_e32 v12, 0x9a, v5
	v_add_nc_u32_e32 v10, 0x134, v5
	;; [unrolled: 1-line block ×3, first 2 shown]
	s_load_b64 s[2:3], s[2:3], 0x0
	v_mul_lo_u16 v8, 0x75, v8
	v_and_b32_e32 v24, 0xffff, v12
	v_and_b32_e32 v25, 0xffff, v10
	;; [unrolled: 1-line block ×3, first 2 shown]
	global_wb scope:SCOPE_SE
	s_wait_dscnt 0x0
	v_lshrrev_b16 v13, 8, v8
	v_add_nc_u32_e32 v8, 0x268, v5
	s_wait_kmcnt 0x0
	s_barrier_signal -1
	s_barrier_wait -1
	global_inv scope:SCOPE_SE
	v_sub_nc_u16 v23, v5, v13
	v_and_b32_e32 v27, 0xffff, v8
	v_cmp_gt_u32_e64 s0, 0x42, v5
	s_delay_alu instid0(VALU_DEP_3) | instskip(NEXT) | instid1(VALU_DEP_1)
	v_lshrrev_b16 v23, 1, v23
	v_and_b32_e32 v23, 0x7f, v23
	s_delay_alu instid0(VALU_DEP_1)
	v_add_nc_u16 v13, v23, v13
	v_mul_u32_u24_e32 v23, 0xba2f, v24
	v_mul_u32_u24_e32 v24, 0xba2f, v25
	;; [unrolled: 1-line block ×4, first 2 shown]
	v_lshrrev_b16 v13, 3, v13
	v_lshrrev_b32_e32 v27, 19, v23
	v_lshrrev_b32_e32 v24, 19, v24
	;; [unrolled: 1-line block ×4, first 2 shown]
	v_mul_lo_u16 v28, v13, 11
	v_mul_lo_u16 v29, v27, 11
	;; [unrolled: 1-line block ×5, first 2 shown]
	v_sub_nc_u16 v28, v5, v28
	v_sub_nc_u16 v29, v12, v29
	;; [unrolled: 1-line block ×5, first 2 shown]
	v_and_b32_e32 v28, 0xff, v28
	v_and_b32_e32 v29, 0xffff, v29
	;; [unrolled: 1-line block ×5, first 2 shown]
	v_lshlrev_b32_e32 v32, 2, v28
	v_lshlrev_b32_e32 v33, 2, v29
	;; [unrolled: 1-line block ×5, first 2 shown]
	s_clause 0x4
	global_load_b32 v37, v32, s[8:9]
	global_load_b32 v38, v33, s[8:9]
	;; [unrolled: 1-line block ×5, first 2 shown]
	ds_load_u16 v42, v0 offset:1848
	ds_load_u16 v43, v0 offset:2156
	ds_load_u16 v32, v0
	ds_load_u16 v33, v0 offset:308
	ds_load_u16 v34, v0 offset:616
	ds_load_u16 v35, v0 offset:924
	ds_load_u16 v46, v0 offset:1540
	ds_load_u16 v36, v0 offset:1232
	ds_load_u16 v44, v0 offset:2464
	ds_load_u16 v45, v0 offset:2772
	v_mul_u32_u24_e32 v24, 44, v24
	v_lshlrev_b32_e32 v30, 1, v30
	v_and_b32_e32 v13, 0xffff, v13
	v_mul_u32_u24_e32 v25, 44, v25
	v_lshlrev_b32_e32 v31, 1, v31
	v_mul_u32_u24_e32 v27, 44, v27
	v_add3_u32 v49, 0, v24, v30
	v_mul_u32_u24_e32 v13, 44, v13
	v_lshlrev_b32_e32 v24, 1, v28
	v_mul_u32_u24_e32 v26, 44, v26
	v_lshlrev_b32_e32 v29, 1, v29
	v_lshlrev_b32_e32 v47, 1, v47
	v_add3_u32 v48, 0, v25, v31
	v_add3_u32 v51, 0, v13, v24
	global_wb scope:SCOPE_SE
	s_wait_loadcnt_dscnt 0x0
	v_add3_u32 v50, 0, v27, v29
	v_add3_u32 v47, 0, v26, v47
	s_barrier_signal -1
	s_barrier_wait -1
	global_inv scope:SCOPE_SE
                                        ; implicit-def: $vgpr31
	v_lshrrev_b32_e32 v56, 16, v37
	v_lshrrev_b32_e32 v55, 16, v38
	;; [unrolled: 1-line block ×5, first 2 shown]
	v_mul_f16_e32 v13, v46, v56
	v_mul_f16_e32 v24, v42, v55
	;; [unrolled: 1-line block ×5, first 2 shown]
	v_fmac_f16_e32 v13, v17, v37
	v_fmac_f16_e32 v24, v11, v38
	;; [unrolled: 1-line block ×5, first 2 shown]
	v_sub_f16_e32 v30, v18, v13
	v_sub_f16_e32 v24, v19, v24
	;; [unrolled: 1-line block ×5, first 2 shown]
	v_fma_f16 v18, v18, 2.0, -v30
	v_fma_f16 v19, v19, 2.0, -v24
	;; [unrolled: 1-line block ×5, first 2 shown]
	ds_store_b16 v51, v18
	ds_store_b16 v51, v30 offset:22
	ds_store_b16 v50, v19
	ds_store_b16 v50, v24 offset:22
	;; [unrolled: 2-line block ×5, first 2 shown]
	global_wb scope:SCOPE_SE
	s_wait_dscnt 0x0
	s_barrier_signal -1
	s_barrier_wait -1
	global_inv scope:SCOPE_SE
	ds_load_u16 v18, v0
	ds_load_u16 v27, v0 offset:440
	ds_load_u16 v26, v0 offset:880
	;; [unrolled: 1-line block ×6, first 2 shown]
                                        ; implicit-def: $vgpr30
                                        ; implicit-def: $vgpr19
	s_and_saveexec_b32 s1, s0
	s_cbranch_execz .LBB0_17
; %bb.16:
	ds_load_u16 v13, v0 offset:308
	ds_load_u16 v29, v0 offset:748
	;; [unrolled: 1-line block ×7, first 2 shown]
.LBB0_17:
	s_wait_alu 0xfffe
	s_or_b32 exec_lo, exec_lo, s1
	v_mul_f16_e32 v17, v17, v56
	v_mul_f16_e32 v11, v11, v55
	;; [unrolled: 1-line block ×5, first 2 shown]
	v_fma_f16 v17, v46, v37, -v17
	v_fma_f16 v11, v42, v38, -v11
	;; [unrolled: 1-line block ×5, first 2 shown]
	v_sub_f16_e32 v17, v32, v17
	v_sub_f16_e32 v21, v33, v11
	v_sub_f16_e32 v14, v34, v14
	v_sub_f16_e32 v11, v35, v16
	v_sub_f16_e32 v43, v36, v15
	v_fma_f16 v15, v32, 2.0, -v17
	v_fma_f16 v16, v33, 2.0, -v21
	v_fma_f16 v32, v34, 2.0, -v14
	v_fma_f16 v33, v35, 2.0, -v11
	v_fma_f16 v44, v36, 2.0, -v43
	global_wb scope:SCOPE_SE
	s_wait_dscnt 0x0
	s_barrier_signal -1
	s_barrier_wait -1
	global_inv scope:SCOPE_SE
	ds_store_b16 v51, v15
	ds_store_b16 v51, v17 offset:22
	ds_store_b16 v50, v16
	ds_store_b16 v50, v21 offset:22
	;; [unrolled: 2-line block ×5, first 2 shown]
	global_wb scope:SCOPE_SE
	s_wait_dscnt 0x0
	s_barrier_signal -1
	s_barrier_wait -1
	global_inv scope:SCOPE_SE
	ds_load_u16 v14, v0
	ds_load_u16 v42, v0 offset:440
	ds_load_u16 v41, v0 offset:880
	ds_load_u16 v40, v0 offset:1320
	ds_load_u16 v16, v0 offset:1760
	ds_load_u16 v17, v0 offset:2200
	ds_load_u16 v39, v0 offset:2640
                                        ; implicit-def: $vgpr45
                                        ; implicit-def: $vgpr15
                                        ; implicit-def: $vgpr46
	s_and_saveexec_b32 s1, s0
	s_cbranch_execz .LBB0_19
; %bb.18:
	ds_load_u16 v11, v0 offset:308
	ds_load_u16 v44, v0 offset:748
	;; [unrolled: 1-line block ×7, first 2 shown]
.LBB0_19:
	s_wait_alu 0xfffe
	s_or_b32 exec_lo, exec_lo, s1
	v_lshrrev_b32_e32 v21, 20, v23
	v_lshrrev_b16 v23, 1, v5
	s_delay_alu instid0(VALU_DEP_2) | instskip(NEXT) | instid1(VALU_DEP_2)
	v_mul_lo_u16 v21, v21, 22
	v_and_b32_e32 v23, 0x7f, v23
	s_delay_alu instid0(VALU_DEP_2) | instskip(NEXT) | instid1(VALU_DEP_2)
	v_sub_nc_u16 v21, v12, v21
	v_mul_lo_u16 v23, 0xbb, v23
	s_delay_alu instid0(VALU_DEP_2) | instskip(NEXT) | instid1(VALU_DEP_2)
	v_and_b32_e32 v21, 0xffff, v21
	v_lshrrev_b16 v23, 11, v23
	s_delay_alu instid0(VALU_DEP_2) | instskip(NEXT) | instid1(VALU_DEP_2)
	v_mul_u32_u24_e32 v32, 6, v21
	v_mul_lo_u16 v33, v23, 22
	v_and_b32_e32 v23, 0xffff, v23
	v_lshlrev_b32_e32 v21, 1, v21
	s_delay_alu instid0(VALU_DEP_4) | instskip(SKIP_4) | instid1(VALU_DEP_1)
	v_lshlrev_b32_e32 v32, 2, v32
	s_clause 0x1
	global_load_b128 v[47:50], v32, s[8:9] offset:44
	global_load_b64 v[55:56], v32, s[8:9] offset:60
	v_sub_nc_u16 v32, v5, v33
	v_and_b32_e32 v32, 0xff, v32
	s_delay_alu instid0(VALU_DEP_1) | instskip(SKIP_1) | instid1(VALU_DEP_2)
	v_mul_u32_u24_e32 v33, 6, v32
	v_lshlrev_b32_e32 v32, 1, v32
	v_lshlrev_b32_e32 v33, 2, v33
	s_clause 0x1
	global_load_b128 v[51:54], v33, s[8:9] offset:44
	global_load_b64 v[57:58], v33, s[8:9] offset:60
	v_mul_u32_u24_e32 v33, 0x134, v23
	v_lshrrev_b16 v23, 1, v12
	global_wb scope:SCOPE_SE
	s_wait_loadcnt_dscnt 0x0
	s_barrier_signal -1
	s_barrier_wait -1
	v_add3_u32 v33, 0, v33, v32
	global_inv scope:SCOPE_SE
	v_lshrrev_b32_e32 v12, 16, v47
	v_lshrrev_b32_e32 v35, 16, v48
	;; [unrolled: 1-line block ×5, first 2 shown]
	v_mul_f16_e32 v34, v44, v12
	v_mul_f16_e32 v12, v29, v12
	;; [unrolled: 1-line block ×10, first 2 shown]
	v_fmac_f16_e32 v34, v29, v47
	v_fma_f16 v29, v44, v47, -v12
	v_fmac_f16_e32 v32, v28, v48
	v_fma_f16 v28, v43, v48, -v60
	;; [unrolled: 2-line block ×4, first 2 shown]
	v_fma_f16 v30, v46, v55, -v63
	v_lshrrev_b32_e32 v12, 16, v51
	v_lshrrev_b32_e32 v43, 16, v52
	v_lshrrev_b32_e32 v44, 16, v53
	v_lshrrev_b32_e32 v45, 16, v54
	v_lshrrev_b32_e32 v46, 16, v57
	v_lshrrev_b32_e32 v47, 16, v58
	v_fmac_f16_e32 v37, v31, v55
	v_mul_f16_e32 v31, v42, v12
	v_mul_f16_e32 v48, v27, v12
	v_mul_f16_e32 v12, v41, v43
	v_mul_f16_e32 v49, v26, v43
	v_mul_f16_e32 v43, v40, v44
	v_mul_f16_e32 v50, v24, v44
	v_mul_f16_e32 v44, v16, v45
	v_mul_f16_e32 v55, v22, v45
	v_mul_f16_e32 v45, v17, v46
	v_mul_f16_e32 v60, v20, v46
	v_mul_f16_e32 v46, v39, v47
	v_mul_f16_e32 v47, v25, v47
	v_fmac_f16_e32 v31, v27, v51
	v_fmac_f16_e32 v12, v26, v52
	;; [unrolled: 1-line block ×4, first 2 shown]
	v_fma_f16 v27, v42, v51, -v48
	v_fma_f16 v41, v41, v52, -v49
	v_fmac_f16_e32 v43, v24, v53
	v_fma_f16 v26, v40, v53, -v50
	v_fmac_f16_e32 v44, v22, v54
	v_fma_f16 v20, v39, v58, -v47
	v_fma_f16 v16, v16, v54, -v55
	;; [unrolled: 1-line block ×3, first 2 shown]
	v_add_f16_e32 v22, v31, v46
	v_add_f16_e32 v24, v12, v45
	v_sub_f16_e32 v25, v27, v20
	v_add_f16_e32 v39, v43, v44
	v_sub_f16_e32 v40, v41, v17
	v_sub_f16_e32 v42, v16, v26
	v_add_f16_e32 v47, v24, v22
	v_sub_f16_e32 v48, v24, v22
	v_sub_f16_e32 v22, v22, v39
	;; [unrolled: 1-line block ×3, first 2 shown]
	v_add_f16_e32 v49, v42, v40
	v_sub_f16_e32 v50, v42, v40
	v_sub_f16_e32 v40, v40, v25
	v_add_f16_e32 v39, v39, v47
	v_sub_f16_e32 v42, v25, v42
	v_add_f16_e32 v25, v49, v25
	v_mul_f16_e32 v22, 0x3a52, v22
	v_mul_f16_e32 v49, 0x3846, v50
	;; [unrolled: 1-line block ×3, first 2 shown]
	v_add_f16_e32 v18, v18, v39
	v_mul_f16_e32 v47, 0x2b26, v24
	v_lshrrev_b32_e32 v59, 16, v56
	v_fmamk_f16 v24, v24, 0x2b26, v22
	v_fmamk_f16 v51, v42, 0xb574, v49
	v_fma_f16 v40, v40, 0xbb00, -v49
	v_fma_f16 v42, v42, 0x3574, -v50
	v_fmamk_f16 v39, v39, 0xbcab, v18
	v_fma_f16 v22, v48, 0xb9e0, -v22
	v_fma_f16 v47, v48, 0x39e0, -v47
	v_mul_f16_e32 v38, v15, v59
	v_mul_f16_e32 v59, v19, v59
	v_fmac_f16_e32 v51, 0xb70e, v25
	v_fmac_f16_e32 v40, 0xb70e, v25
	;; [unrolled: 1-line block ×3, first 2 shown]
	v_add_f16_e32 v25, v24, v39
	v_add_f16_e32 v22, v22, v39
	;; [unrolled: 1-line block ×3, first 2 shown]
	v_fmac_f16_e32 v38, v19, v56
	v_fma_f16 v24, v15, v56, -v59
	v_add_f16_e32 v15, v51, v25
	v_add_f16_e32 v19, v42, v22
	v_sub_f16_e32 v47, v39, v40
	v_add_f16_e32 v39, v40, v39
	v_sub_f16_e32 v22, v22, v42
	v_sub_f16_e32 v25, v25, v51
	ds_store_b16 v33, v18
	ds_store_b16 v33, v15 offset:44
	ds_store_b16 v33, v19 offset:88
	;; [unrolled: 1-line block ×6, first 2 shown]
	s_and_saveexec_b32 s1, s0
	s_cbranch_execz .LBB0_21
; %bb.20:
	v_add_f16_e32 v15, v34, v38
	v_add_f16_e32 v18, v32, v37
	;; [unrolled: 1-line block ×3, first 2 shown]
	v_sub_f16_e32 v22, v29, v24
	v_sub_f16_e32 v25, v7, v6
	;; [unrolled: 1-line block ×3, first 2 shown]
	v_add_f16_e32 v39, v18, v15
	v_and_b32_e32 v42, 0x7f, v23
	v_sub_f16_e32 v47, v15, v19
	v_sub_f16_e32 v48, v19, v18
	;; [unrolled: 1-line block ×3, first 2 shown]
	v_add_f16_e32 v19, v19, v39
	v_sub_f16_e32 v39, v22, v25
	v_add_f16_e32 v25, v25, v40
	v_sub_f16_e32 v40, v40, v22
	v_mul_lo_u16 v42, 0xbb, v42
	v_mul_f16_e32 v49, 0x3846, v49
	v_mul_f16_e32 v47, 0x3a52, v47
	v_add_f16_e32 v22, v25, v22
	v_mul_f16_e32 v25, 0xbb00, v40
	v_lshrrev_b16 v42, 11, v42
	v_add_f16_e32 v13, v13, v19
	v_sub_f16_e32 v15, v18, v15
	v_mul_f16_e32 v50, 0x2b26, v48
	v_fmamk_f16 v18, v39, 0xb574, v49
	v_fma_f16 v25, v39, 0x3574, -v25
	v_and_b32_e32 v39, 0xffff, v42
	v_fmamk_f16 v48, v48, 0x2b26, v47
	v_fmamk_f16 v19, v19, 0xbcab, v13
	v_fma_f16 v47, v15, 0xb9e0, -v47
	v_fma_f16 v40, v40, 0xbb00, -v49
	;; [unrolled: 1-line block ×3, first 2 shown]
	v_mul_u32_u24_e32 v39, 0x134, v39
	v_add_f16_e32 v48, v48, v19
	v_fmac_f16_e32 v18, 0xb70e, v22
	v_add_f16_e32 v42, v47, v19
	v_fmac_f16_e32 v25, 0xb70e, v22
	v_fmac_f16_e32 v40, 0xb70e, v22
	v_add_f16_e32 v15, v15, v19
	v_add3_u32 v22, 0, v39, v21
	v_sub_f16_e32 v47, v48, v18
	v_add_f16_e32 v18, v18, v48
	v_sub_f16_e32 v19, v42, v25
	v_add_f16_e32 v25, v25, v42
	;; [unrolled: 2-line block ×3, first 2 shown]
	ds_store_b16 v22, v13
	ds_store_b16 v22, v18 offset:44
	ds_store_b16 v22, v25 offset:88
	;; [unrolled: 1-line block ×6, first 2 shown]
.LBB0_21:
	s_wait_alu 0xfffe
	s_or_b32 exec_lo, exec_lo, s1
	v_add_f16_e32 v13, v27, v20
	v_add_f16_e32 v15, v41, v17
	v_sub_f16_e32 v17, v31, v46
	v_add_f16_e32 v16, v26, v16
	v_sub_f16_e32 v12, v12, v45
	v_sub_f16_e32 v18, v44, v43
	v_add_f16_e32 v19, v15, v13
	v_sub_f16_e32 v20, v15, v13
	v_sub_f16_e32 v13, v13, v16
	;; [unrolled: 1-line block ×3, first 2 shown]
	v_add_f16_e32 v22, v18, v12
	v_add_f16_e32 v16, v16, v19
	v_sub_f16_e32 v19, v18, v12
	v_sub_f16_e32 v12, v12, v17
	;; [unrolled: 1-line block ×3, first 2 shown]
	v_add_f16_e32 v17, v22, v17
	v_add_f16_e32 v25, v14, v16
	v_mul_f16_e32 v13, 0x3a52, v13
	v_mul_f16_e32 v14, 0x2b26, v15
	;; [unrolled: 1-line block ×4, first 2 shown]
	v_fmamk_f16 v16, v16, 0xbcab, v25
	v_fmamk_f16 v15, v15, 0x2b26, v13
	v_fma_f16 v14, v20, 0x39e0, -v14
	v_fma_f16 v13, v20, 0xb9e0, -v13
	v_fmamk_f16 v26, v18, 0xb574, v19
	v_fma_f16 v27, v12, 0xbb00, -v19
	v_fma_f16 v31, v18, 0x3574, -v22
	v_add_f16_e32 v39, v15, v16
	v_add_f16_e32 v40, v14, v16
	;; [unrolled: 1-line block ×3, first 2 shown]
	v_fmac_f16_e32 v26, 0xb70e, v17
	v_fmac_f16_e32 v27, 0xb70e, v17
	;; [unrolled: 1-line block ×3, first 2 shown]
	global_wb scope:SCOPE_SE
	s_wait_dscnt 0x0
	s_barrier_signal -1
	s_barrier_wait -1
	global_inv scope:SCOPE_SE
	ds_load_u16 v12, v0
	ds_load_u16 v14, v0 offset:2156
	ds_load_u16 v18, v0 offset:1848
	;; [unrolled: 1-line block ×9, first 2 shown]
	v_sub_f16_e32 v42, v39, v26
	v_sub_f16_e32 v43, v41, v31
	v_add_f16_e32 v44, v27, v40
	v_sub_f16_e32 v27, v40, v27
	v_add_f16_e32 v31, v31, v41
	v_add_f16_e32 v26, v26, v39
	global_wb scope:SCOPE_SE
	s_wait_dscnt 0x0
	s_barrier_signal -1
	s_barrier_wait -1
	global_inv scope:SCOPE_SE
	ds_store_b16 v33, v25
	ds_store_b16 v33, v42 offset:44
	ds_store_b16 v33, v43 offset:88
	;; [unrolled: 1-line block ×6, first 2 shown]
	s_and_saveexec_b32 s1, s0
	s_cbranch_execz .LBB0_23
; %bb.22:
	v_add_f16_e32 v24, v29, v24
	v_add_f16_e32 v25, v28, v30
	v_and_b32_e32 v23, 0x7f, v23
	v_add_f16_e32 v6, v6, v7
	v_sub_f16_e32 v7, v32, v37
	v_sub_f16_e32 v27, v36, v35
	v_add_f16_e32 v28, v25, v24
	v_sub_f16_e32 v26, v34, v38
	v_mul_lo_u16 v23, 0xbb, v23
	v_sub_f16_e32 v29, v25, v24
	v_sub_f16_e32 v24, v24, v6
	;; [unrolled: 1-line block ×3, first 2 shown]
	v_add_f16_e32 v30, v27, v7
	v_add_f16_e32 v6, v6, v28
	v_sub_f16_e32 v28, v27, v7
	v_sub_f16_e32 v7, v7, v26
	v_lshrrev_b16 v23, 11, v23
	v_sub_f16_e32 v27, v26, v27
	v_add_f16_e32 v26, v30, v26
	v_add_f16_e32 v11, v11, v6
	v_mul_f16_e32 v24, 0x3a52, v24
	v_mul_f16_e32 v30, 0x2b26, v25
	;; [unrolled: 1-line block ×4, first 2 shown]
	v_and_b32_e32 v23, 0xffff, v23
	v_fmamk_f16 v6, v6, 0xbcab, v11
	v_fmamk_f16 v25, v25, 0x2b26, v24
	v_fma_f16 v30, v29, 0x39e0, -v30
	v_fma_f16 v24, v29, 0xb9e0, -v24
	v_fmamk_f16 v29, v27, 0xb574, v28
	v_fma_f16 v27, v27, 0x3574, -v31
	v_fma_f16 v7, v7, 0xbb00, -v28
	v_mul_u32_u24_e32 v23, 0x134, v23
	v_add_f16_e32 v25, v25, v6
	v_fmac_f16_e32 v29, 0xb70e, v26
	v_add_f16_e32 v28, v30, v6
	v_add_f16_e32 v6, v24, v6
	v_fmac_f16_e32 v27, 0xb70e, v26
	v_fmac_f16_e32 v7, 0xb70e, v26
	v_add3_u32 v21, 0, v23, v21
	v_sub_f16_e32 v24, v25, v29
	v_add_f16_e32 v25, v29, v25
	v_sub_f16_e32 v26, v6, v27
	v_add_f16_e32 v23, v7, v28
	v_sub_f16_e32 v7, v28, v7
	v_add_f16_e32 v6, v27, v6
	ds_store_b16 v21, v11
	ds_store_b16 v21, v24 offset:44
	ds_store_b16 v21, v26 offset:88
	;; [unrolled: 1-line block ×6, first 2 shown]
.LBB0_23:
	s_wait_alu 0xfffe
	s_or_b32 exec_lo, exec_lo, s1
	v_dual_mov_b32 v7, 0 :: v_dual_lshlrev_b32 v6, 2, v5
	global_wb scope:SCOPE_SE
	s_wait_dscnt 0x0
	s_barrier_signal -1
	s_barrier_wait -1
	global_inv scope:SCOPE_SE
	v_lshlrev_b64_e32 v[23:24], 2, v[6:7]
	s_delay_alu instid0(VALU_DEP_1) | instskip(SKIP_1) | instid1(VALU_DEP_2)
	v_add_co_u32 v23, s0, s8, v23
	s_wait_alu 0xf1ff
	v_add_co_ci_u32_e64 v24, s0, s9, v24, s0
	global_load_b128 v[23:26], v[23:24], off offset:572
	ds_load_u16 v6, v0 offset:616
	ds_load_u16 v11, v0 offset:1232
	;; [unrolled: 1-line block ×7, first 2 shown]
	ds_load_u16 v31, v0
	ds_load_u16 v32, v0 offset:308
	ds_load_u16 v33, v0 offset:2772
	global_wb scope:SCOPE_SE
	s_wait_loadcnt_dscnt 0x0
	s_barrier_signal -1
	s_barrier_wait -1
	global_inv scope:SCOPE_SE
	v_lshrrev_b32_e32 v34, 16, v23
	v_lshrrev_b32_e32 v35, 16, v24
	;; [unrolled: 1-line block ×4, first 2 shown]
	s_delay_alu instid0(VALU_DEP_4) | instskip(NEXT) | instid1(VALU_DEP_4)
	v_mul_f16_e32 v38, v6, v34
	v_mul_f16_e32 v40, v11, v35
	s_delay_alu instid0(VALU_DEP_4) | instskip(NEXT) | instid1(VALU_DEP_4)
	v_mul_f16_e32 v42, v21, v36
	v_mul_f16_e32 v44, v27, v37
	;; [unrolled: 1-line block ×14, first 2 shown]
	v_fmac_f16_e32 v38, v22, v23
	v_fmac_f16_e32 v40, v19, v24
	;; [unrolled: 1-line block ×4, first 2 shown]
	v_fma_f16 v6, v6, v23, -v39
	v_fmac_f16_e32 v46, v17, v23
	v_fmac_f16_e32 v47, v15, v24
	;; [unrolled: 1-line block ×4, first 2 shown]
	v_fma_f16 v11, v11, v24, -v41
	v_fma_f16 v18, v21, v25, -v43
	;; [unrolled: 1-line block ×7, first 2 shown]
	v_add_f16_e32 v20, v12, v38
	v_add_f16_e32 v21, v40, v42
	;; [unrolled: 1-line block ×6, first 2 shown]
	v_sub_f16_e32 v24, v38, v40
	v_sub_f16_e32 v25, v44, v42
	;; [unrolled: 1-line block ×4, first 2 shown]
	v_add_f16_e32 v39, v13, v46
	v_sub_f16_e32 v22, v6, v19
	v_sub_f16_e32 v33, v38, v44
	;; [unrolled: 1-line block ×3, first 2 shown]
	v_add_f16_e32 v37, v6, v19
	v_sub_f16_e32 v6, v11, v6
	v_sub_f16_e32 v38, v18, v19
	;; [unrolled: 1-line block ×3, first 2 shown]
	v_add_f16_e32 v55, v32, v17
	v_sub_f16_e32 v58, v17, v15
	v_add_f16_e32 v60, v17, v16
	v_sub_f16_e32 v17, v15, v17
	v_sub_f16_e32 v61, v14, v16
	v_add_f16_e32 v20, v20, v40
	v_fma_f16 v21, -0.5, v21, v12
	v_sub_f16_e32 v23, v11, v18
	v_fmac_f16_e32 v12, -0.5, v26
	v_add_f16_e32 v30, v11, v18
	v_sub_f16_e32 v45, v15, v14
	v_add_f16_e32 v11, v29, v11
	v_fma_f16 v29, -0.5, v41, v13
	v_fmac_f16_e32 v13, -0.5, v52
	v_add_f16_e32 v24, v24, v25
	v_add_f16_e32 v25, v27, v28
	v_add_f16_e32 v28, v39, v47
	v_add_f16_e32 v6, v6, v38
	v_add_f16_e32 v38, v17, v61
	v_add_f16_e32 v17, v20, v42
	v_fmamk_f16 v20, v22, 0xbb9c, v21
	v_fmamk_f16 v39, v23, 0x3b9c, v12
	v_fmac_f16_e32 v12, 0xbb9c, v23
	v_sub_f16_e32 v34, v40, v42
	v_sub_f16_e32 v36, v19, v18
	;; [unrolled: 1-line block ×4, first 2 shown]
	v_fmac_f16_e32 v21, 0x3b9c, v22
	v_fmamk_f16 v42, v45, 0x3b9c, v13
	v_fmac_f16_e32 v13, 0xbb9c, v45
	v_sub_f16_e32 v50, v46, v47
	v_sub_f16_e32 v51, v49, v48
	v_add_f16_e32 v56, v15, v14
	v_add_f16_e32 v15, v55, v15
	;; [unrolled: 1-line block ×4, first 2 shown]
	v_fmamk_f16 v28, v43, 0xbb9c, v29
	v_fmac_f16_e32 v29, 0x3b9c, v43
	v_fmac_f16_e32 v20, 0xb8b4, v23
	;; [unrolled: 1-line block ×4, first 2 shown]
	v_add_f16_e32 v27, v35, v36
	v_add_f16_e32 v35, v53, v54
	v_fmac_f16_e32 v21, 0x38b4, v23
	v_fmac_f16_e32 v13, 0x38b4, v43
	v_sub_f16_e32 v59, v16, v14
	v_fma_f16 v26, -0.5, v30, v31
	v_add_f16_e32 v30, v50, v51
	v_add_f16_e32 v14, v15, v14
	;; [unrolled: 1-line block ×3, first 2 shown]
	v_fmac_f16_e32 v28, 0xb8b4, v45
	v_fmac_f16_e32 v29, 0x38b4, v45
	;; [unrolled: 1-line block ×6, first 2 shown]
	v_add_f16_e32 v22, v11, v19
	v_add_f16_e32 v11, v18, v49
	v_fmac_f16_e32 v21, 0x34f2, v24
	v_fmac_f16_e32 v13, 0x34f2, v35
	v_add_f16_e32 v23, v14, v16
	v_fmac_f16_e32 v28, 0x34f2, v30
	v_fmac_f16_e32 v29, 0x34f2, v30
	;; [unrolled: 1-line block ×3, first 2 shown]
	ds_store_b16 v0, v15
	ds_store_b16 v0, v20 offset:308
	ds_store_b16 v0, v39 offset:616
	;; [unrolled: 1-line block ×9, first 2 shown]
	global_wb scope:SCOPE_SE
	s_wait_dscnt 0x0
	s_barrier_signal -1
	s_barrier_wait -1
	global_inv scope:SCOPE_SE
	ds_load_u16 v16, v0 offset:1848
	ds_load_u16 v17, v0 offset:2156
	ds_load_u16 v11, v0
	ds_load_u16 v12, v0 offset:308
	ds_load_u16 v13, v0 offset:616
	;; [unrolled: 1-line block ×7, first 2 shown]
	v_fmac_f16_e32 v31, -0.5, v37
	v_sub_f16_e32 v46, v46, v49
	v_sub_f16_e32 v57, v47, v48
	v_fma_f16 v36, -0.5, v56, v32
	v_fmac_f16_e32 v32, -0.5, v60
	v_fmamk_f16 v40, v33, 0x3b9c, v26
	v_fmamk_f16 v41, v34, 0xbb9c, v31
	v_fmac_f16_e32 v31, 0x3b9c, v34
	v_fmac_f16_e32 v26, 0xbb9c, v33
	v_fmamk_f16 v47, v46, 0x3b9c, v36
	v_fmac_f16_e32 v36, 0xbb9c, v46
	v_fmamk_f16 v48, v57, 0xbb9c, v32
	v_fmac_f16_e32 v32, 0x3b9c, v57
	v_fmac_f16_e32 v40, 0x38b4, v34
	;; [unrolled: 1-line block ×5, first 2 shown]
	v_add_f16_e32 v37, v58, v59
	v_fmac_f16_e32 v47, 0x38b4, v57
	v_fmac_f16_e32 v36, 0xb8b4, v57
	v_fmac_f16_e32 v48, 0x38b4, v46
	v_fmac_f16_e32 v32, 0xb8b4, v46
	v_fmac_f16_e32 v40, 0x34f2, v27
	v_fmac_f16_e32 v41, 0x34f2, v6
	v_fmac_f16_e32 v31, 0x34f2, v6
	v_fmac_f16_e32 v26, 0x34f2, v27
	v_fmac_f16_e32 v47, 0x34f2, v37
	v_fmac_f16_e32 v36, 0x34f2, v37
	v_fmac_f16_e32 v48, 0x34f2, v38
	v_fmac_f16_e32 v32, 0x34f2, v38
	global_wb scope:SCOPE_SE
	s_wait_dscnt 0x0
	s_barrier_signal -1
	s_barrier_wait -1
	global_inv scope:SCOPE_SE
	ds_store_b16 v0, v22
	ds_store_b16 v0, v40 offset:308
	ds_store_b16 v0, v41 offset:616
	;; [unrolled: 1-line block ×9, first 2 shown]
	global_wb scope:SCOPE_SE
	s_wait_dscnt 0x0
	s_barrier_signal -1
	s_barrier_wait -1
	global_inv scope:SCOPE_SE
	s_and_saveexec_b32 s0, vcc_lo
	s_cbranch_execz .LBB0_25
; %bb.24:
	v_mov_b32_e32 v6, v7
	v_mul_hi_u32 v10, 0x551c979b, v10
	v_mul_hi_u32 v9, 0x551c979b, v9
	;; [unrolled: 1-line block ×3, first 2 shown]
	s_delay_alu instid0(VALU_DEP_4) | instskip(NEXT) | instid1(VALU_DEP_2)
	v_lshlrev_b64_e32 v[21:22], 2, v[5:6]
	v_lshrrev_b32_e32 v37, 8, v8
	s_delay_alu instid0(VALU_DEP_2) | instskip(SKIP_1) | instid1(VALU_DEP_3)
	v_add_co_u32 v5, vcc_lo, s8, v21
	s_wait_alu 0xfffd
	v_add_co_ci_u32_e32 v6, vcc_lo, s9, v22, vcc_lo
	s_clause 0x4
	global_load_b32 v23, v[5:6], off offset:5500
	global_load_b32 v24, v[5:6], off offset:4884
	;; [unrolled: 1-line block ×5, first 2 shown]
	v_mul_lo_u32 v5, s3, v3
	v_mul_lo_u32 v6, s2, v4
	v_mad_co_u64_u32 v[3:4], null, s2, v3, 0
	ds_load_u16 v28, v0 offset:2772
	ds_load_u16 v29, v0 offset:2464
	;; [unrolled: 1-line block ×5, first 2 shown]
	v_add3_u32 v4, v4, v6, v5
	v_lshrrev_b32_e32 v5, 8, v10
	ds_load_u16 v10, v0 offset:1232
	ds_load_u16 v33, v0 offset:924
	ds_load_u16 v34, v0 offset:616
	ds_load_u16 v35, v0 offset:308
	ds_load_u16 v36, v0
	v_lshlrev_b64_e32 v[0:1], 2, v[1:2]
	v_lshlrev_b64_e32 v[3:4], 2, v[3:4]
	v_mul_u32_u24_e32 v6, 0x302, v5
	v_lshrrev_b32_e32 v5, 8, v9
	s_delay_alu instid0(VALU_DEP_2) | instskip(NEXT) | instid1(VALU_DEP_2)
	v_lshlrev_b64_e32 v[8:9], 2, v[6:7]
	v_mul_u32_u24_e32 v6, 0x302, v5
	v_add_co_u32 v5, vcc_lo, s6, v3
	s_wait_alu 0xfffd
	v_add_co_ci_u32_e32 v4, vcc_lo, s7, v4, vcc_lo
	s_delay_alu instid0(VALU_DEP_3) | instskip(NEXT) | instid1(VALU_DEP_3)
	v_lshlrev_b64_e32 v[2:3], 2, v[6:7]
	v_add_co_u32 v0, vcc_lo, v5, v0
	s_wait_alu 0xfffd
	s_delay_alu instid0(VALU_DEP_3) | instskip(SKIP_1) | instid1(VALU_DEP_3)
	v_add_co_ci_u32_e32 v1, vcc_lo, v4, v1, vcc_lo
	v_mul_u32_u24_e32 v6, 0x302, v37
	v_add_co_u32 v0, vcc_lo, v0, v21
	s_wait_alu 0xfffd
	s_delay_alu instid0(VALU_DEP_3) | instskip(NEXT) | instid1(VALU_DEP_3)
	v_add_co_ci_u32_e32 v1, vcc_lo, v1, v22, vcc_lo
	v_lshlrev_b64_e32 v[4:5], 2, v[6:7]
	s_delay_alu instid0(VALU_DEP_3) | instskip(SKIP_1) | instid1(VALU_DEP_3)
	v_add_co_u32 v6, vcc_lo, v0, v8
	s_wait_alu 0xfffd
	v_add_co_ci_u32_e32 v7, vcc_lo, v1, v9, vcc_lo
	v_add_co_u32 v2, vcc_lo, v0, v2
	s_wait_alu 0xfffd
	v_add_co_ci_u32_e32 v3, vcc_lo, v1, v3, vcc_lo
	;; [unrolled: 3-line block ×3, first 2 shown]
	s_wait_loadcnt 0x4
	v_lshrrev_b32_e32 v8, 16, v23
	v_mul_f16_e32 v9, v20, v23
	s_wait_loadcnt 0x2
	v_lshrrev_b32_e32 v37, 16, v25
	s_wait_loadcnt 0x1
	v_lshrrev_b32_e32 v39, 16, v26
	;; [unrolled: 2-line block ×3, first 2 shown]
	v_lshrrev_b32_e32 v21, 16, v24
	v_mul_f16_e32 v42, v18, v27
	v_mul_f16_e32 v22, v19, v24
	;; [unrolled: 1-line block ×7, first 2 shown]
	s_wait_dscnt 0x9
	v_fmac_f16_e32 v9, v28, v8
	v_mul_f16_e32 v8, v20, v8
	v_mul_f16_e32 v19, v19, v21
	s_wait_dscnt 0x5
	v_fmac_f16_e32 v42, v32, v41
	v_fma_f16 v18, v32, v27, -v18
	v_fmac_f16_e32 v22, v29, v21
	v_fmac_f16_e32 v40, v31, v39
	v_fma_f16 v16, v31, v26, -v16
	v_fmac_f16_e32 v38, v30, v37
	v_fma_f16 v17, v30, v25, -v17
	v_fma_f16 v8, v28, v23, -v8
	;; [unrolled: 1-line block ×3, first 2 shown]
	v_sub_f16_e32 v23, v11, v42
	s_wait_dscnt 0x0
	v_sub_f16_e32 v18, v36, v18
	v_sub_f16_e32 v20, v14, v22
	;; [unrolled: 1-line block ×9, first 2 shown]
	v_fma_f16 v11, v11, 2.0, -v23
	v_fma_f16 v27, v36, 2.0, -v18
	;; [unrolled: 1-line block ×10, first 2 shown]
	v_pack_b32_f16 v8, v9, v8
	v_pack_b32_f16 v9, v11, v27
	v_pack_b32_f16 v11, v12, v26
	v_pack_b32_f16 v18, v23, v18
	v_pack_b32_f16 v16, v22, v16
	v_pack_b32_f16 v12, v13, v25
	v_pack_b32_f16 v17, v21, v17
	v_pack_b32_f16 v19, v20, v19
	v_pack_b32_f16 v13, v14, v24
	v_pack_b32_f16 v10, v15, v10
	s_clause 0x9
	global_store_b32 v[0:1], v9, off
	global_store_b32 v[0:1], v11, off offset:616
	global_store_b32 v[0:1], v18, off offset:3080
	;; [unrolled: 1-line block ×9, first 2 shown]
.LBB0_25:
	s_nop 0
	s_sendmsg sendmsg(MSG_DEALLOC_VGPRS)
	s_endpgm
	.section	.rodata,"a",@progbits
	.p2align	6, 0x0
	.amdhsa_kernel fft_rtc_back_len1540_factors_11_2_7_5_2_wgs_154_tpt_154_halfLds_half_op_CI_CI_unitstride_sbrr_dirReg
		.amdhsa_group_segment_fixed_size 0
		.amdhsa_private_segment_fixed_size 0
		.amdhsa_kernarg_size 104
		.amdhsa_user_sgpr_count 2
		.amdhsa_user_sgpr_dispatch_ptr 0
		.amdhsa_user_sgpr_queue_ptr 0
		.amdhsa_user_sgpr_kernarg_segment_ptr 1
		.amdhsa_user_sgpr_dispatch_id 0
		.amdhsa_user_sgpr_private_segment_size 0
		.amdhsa_wavefront_size32 1
		.amdhsa_uses_dynamic_stack 0
		.amdhsa_enable_private_segment 0
		.amdhsa_system_sgpr_workgroup_id_x 1
		.amdhsa_system_sgpr_workgroup_id_y 0
		.amdhsa_system_sgpr_workgroup_id_z 0
		.amdhsa_system_sgpr_workgroup_info 0
		.amdhsa_system_vgpr_workitem_id 0
		.amdhsa_next_free_vgpr 64
		.amdhsa_next_free_sgpr 39
		.amdhsa_reserve_vcc 1
		.amdhsa_float_round_mode_32 0
		.amdhsa_float_round_mode_16_64 0
		.amdhsa_float_denorm_mode_32 3
		.amdhsa_float_denorm_mode_16_64 3
		.amdhsa_fp16_overflow 0
		.amdhsa_workgroup_processor_mode 1
		.amdhsa_memory_ordered 1
		.amdhsa_forward_progress 0
		.amdhsa_round_robin_scheduling 0
		.amdhsa_exception_fp_ieee_invalid_op 0
		.amdhsa_exception_fp_denorm_src 0
		.amdhsa_exception_fp_ieee_div_zero 0
		.amdhsa_exception_fp_ieee_overflow 0
		.amdhsa_exception_fp_ieee_underflow 0
		.amdhsa_exception_fp_ieee_inexact 0
		.amdhsa_exception_int_div_zero 0
	.end_amdhsa_kernel
	.text
.Lfunc_end0:
	.size	fft_rtc_back_len1540_factors_11_2_7_5_2_wgs_154_tpt_154_halfLds_half_op_CI_CI_unitstride_sbrr_dirReg, .Lfunc_end0-fft_rtc_back_len1540_factors_11_2_7_5_2_wgs_154_tpt_154_halfLds_half_op_CI_CI_unitstride_sbrr_dirReg
                                        ; -- End function
	.section	.AMDGPU.csdata,"",@progbits
; Kernel info:
; codeLenInByte = 9664
; NumSgprs: 41
; NumVgprs: 64
; ScratchSize: 0
; MemoryBound: 0
; FloatMode: 240
; IeeeMode: 1
; LDSByteSize: 0 bytes/workgroup (compile time only)
; SGPRBlocks: 5
; VGPRBlocks: 7
; NumSGPRsForWavesPerEU: 41
; NumVGPRsForWavesPerEU: 64
; Occupancy: 15
; WaveLimiterHint : 1
; COMPUTE_PGM_RSRC2:SCRATCH_EN: 0
; COMPUTE_PGM_RSRC2:USER_SGPR: 2
; COMPUTE_PGM_RSRC2:TRAP_HANDLER: 0
; COMPUTE_PGM_RSRC2:TGID_X_EN: 1
; COMPUTE_PGM_RSRC2:TGID_Y_EN: 0
; COMPUTE_PGM_RSRC2:TGID_Z_EN: 0
; COMPUTE_PGM_RSRC2:TIDIG_COMP_CNT: 0
	.text
	.p2alignl 7, 3214868480
	.fill 96, 4, 3214868480
	.type	__hip_cuid_8bce0ea2409b2927,@object ; @__hip_cuid_8bce0ea2409b2927
	.section	.bss,"aw",@nobits
	.globl	__hip_cuid_8bce0ea2409b2927
__hip_cuid_8bce0ea2409b2927:
	.byte	0                               ; 0x0
	.size	__hip_cuid_8bce0ea2409b2927, 1

	.ident	"AMD clang version 19.0.0git (https://github.com/RadeonOpenCompute/llvm-project roc-6.4.0 25133 c7fe45cf4b819c5991fe208aaa96edf142730f1d)"
	.section	".note.GNU-stack","",@progbits
	.addrsig
	.addrsig_sym __hip_cuid_8bce0ea2409b2927
	.amdgpu_metadata
---
amdhsa.kernels:
  - .args:
      - .actual_access:  read_only
        .address_space:  global
        .offset:         0
        .size:           8
        .value_kind:     global_buffer
      - .offset:         8
        .size:           8
        .value_kind:     by_value
      - .actual_access:  read_only
        .address_space:  global
        .offset:         16
        .size:           8
        .value_kind:     global_buffer
      - .actual_access:  read_only
        .address_space:  global
        .offset:         24
        .size:           8
        .value_kind:     global_buffer
      - .actual_access:  read_only
        .address_space:  global
        .offset:         32
        .size:           8
        .value_kind:     global_buffer
      - .offset:         40
        .size:           8
        .value_kind:     by_value
      - .actual_access:  read_only
        .address_space:  global
        .offset:         48
        .size:           8
        .value_kind:     global_buffer
      - .actual_access:  read_only
        .address_space:  global
        .offset:         56
        .size:           8
        .value_kind:     global_buffer
      - .offset:         64
        .size:           4
        .value_kind:     by_value
      - .actual_access:  read_only
        .address_space:  global
        .offset:         72
        .size:           8
        .value_kind:     global_buffer
      - .actual_access:  read_only
        .address_space:  global
        .offset:         80
        .size:           8
        .value_kind:     global_buffer
      - .actual_access:  read_only
        .address_space:  global
        .offset:         88
        .size:           8
        .value_kind:     global_buffer
      - .actual_access:  write_only
        .address_space:  global
        .offset:         96
        .size:           8
        .value_kind:     global_buffer
    .group_segment_fixed_size: 0
    .kernarg_segment_align: 8
    .kernarg_segment_size: 104
    .language:       OpenCL C
    .language_version:
      - 2
      - 0
    .max_flat_workgroup_size: 154
    .name:           fft_rtc_back_len1540_factors_11_2_7_5_2_wgs_154_tpt_154_halfLds_half_op_CI_CI_unitstride_sbrr_dirReg
    .private_segment_fixed_size: 0
    .sgpr_count:     41
    .sgpr_spill_count: 0
    .symbol:         fft_rtc_back_len1540_factors_11_2_7_5_2_wgs_154_tpt_154_halfLds_half_op_CI_CI_unitstride_sbrr_dirReg.kd
    .uniform_work_group_size: 1
    .uses_dynamic_stack: false
    .vgpr_count:     64
    .vgpr_spill_count: 0
    .wavefront_size: 32
    .workgroup_processor_mode: 1
amdhsa.target:   amdgcn-amd-amdhsa--gfx1201
amdhsa.version:
  - 1
  - 2
...

	.end_amdgpu_metadata
